;; amdgpu-corpus repo=ROCm/rocFFT kind=compiled arch=gfx1201 opt=O3
	.text
	.amdgcn_target "amdgcn-amd-amdhsa--gfx1201"
	.amdhsa_code_object_version 6
	.protected	fft_rtc_back_len200_factors_8_5_5_wgs_400_tpt_40_sp_op_CI_CI_sbcr_dirReg_intrinsicReadWrite ; -- Begin function fft_rtc_back_len200_factors_8_5_5_wgs_400_tpt_40_sp_op_CI_CI_sbcr_dirReg_intrinsicReadWrite
	.globl	fft_rtc_back_len200_factors_8_5_5_wgs_400_tpt_40_sp_op_CI_CI_sbcr_dirReg_intrinsicReadWrite
	.p2align	8
	.type	fft_rtc_back_len200_factors_8_5_5_wgs_400_tpt_40_sp_op_CI_CI_sbcr_dirReg_intrinsicReadWrite,@function
fft_rtc_back_len200_factors_8_5_5_wgs_400_tpt_40_sp_op_CI_CI_sbcr_dirReg_intrinsicReadWrite: ; @fft_rtc_back_len200_factors_8_5_5_wgs_400_tpt_40_sp_op_CI_CI_sbcr_dirReg_intrinsicReadWrite
; %bb.0:
	s_clause 0x1
	s_load_b128 s[16:19], s[0:1], 0x10
	s_load_b64 s[26:27], s[0:1], 0x20
	s_mov_b32 s31, 0
	s_mov_b32 s2, 0x99986000
	s_movk_i32 s3, 0x59
	s_mov_b32 s30, s31
	s_mov_b64 s[24:25], 0
	s_add_nc_u64 s[4:5], s[30:31], s[2:3]
	s_delay_alu instid0(SALU_CYCLE_1) | instskip(NEXT) | instid1(SALU_CYCLE_1)
	s_add_co_i32 s5, s5, 0x19999940
	s_mul_u64 s[6:7], s[4:5], -10
	s_delay_alu instid0(SALU_CYCLE_1)
	s_mul_hi_u32 s9, s4, s7
	s_mul_i32 s8, s4, s7
	s_mul_hi_u32 s30, s4, s6
	s_mul_i32 s11, s5, s6
	s_add_nc_u64 s[8:9], s[30:31], s[8:9]
	s_mul_hi_u32 s10, s5, s6
	s_mul_hi_u32 s12, s5, s7
	s_wait_kmcnt 0x0
	s_load_b64 s[2:3], s[16:17], 0x8
	s_mul_i32 s6, s5, s7
	s_add_co_u32 s7, s8, s11
	s_add_co_ci_u32 s30, s9, s10
	s_add_co_ci_u32 s7, s12, 0
	s_delay_alu instid0(SALU_CYCLE_1) | instskip(NEXT) | instid1(SALU_CYCLE_1)
	s_add_nc_u64 s[6:7], s[30:31], s[6:7]
	v_add_co_u32 v1, s4, s4, s6
	s_delay_alu instid0(VALU_DEP_1) | instskip(SKIP_1) | instid1(VALU_DEP_1)
	s_cmp_lg_u32 s4, 0
	s_add_co_ci_u32 s8, s5, s7
	v_readfirstlane_b32 s9, v1
	s_wait_kmcnt 0x0
	s_add_nc_u64 s[4:5], s[2:3], -1
	s_wait_alu 0xfffe
	s_mul_hi_u32 s7, s4, s8
	s_mul_i32 s6, s4, s8
	s_mul_hi_u32 s30, s4, s9
	s_mul_hi_u32 s11, s5, s9
	s_mul_i32 s9, s5, s9
	s_wait_alu 0xfffe
	s_add_nc_u64 s[6:7], s[30:31], s[6:7]
	s_mul_hi_u32 s10, s5, s8
	s_wait_alu 0xfffe
	s_add_co_u32 s6, s6, s9
	s_add_co_ci_u32 s30, s7, s11
	s_mul_i32 s8, s5, s8
	s_add_co_ci_u32 s9, s10, 0
	s_delay_alu instid0(SALU_CYCLE_1) | instskip(SKIP_3) | instid1(SALU_CYCLE_1)
	s_add_nc_u64 s[6:7], s[30:31], s[8:9]
	s_mov_b32 s30, ttmp9
	s_wait_alu 0xfffe
	s_mul_u64 s[8:9], s[6:7], 10
	v_sub_co_u32 v1, s4, s4, s8
	s_delay_alu instid0(VALU_DEP_1) | instskip(SKIP_1) | instid1(VALU_DEP_1)
	s_cmp_lg_u32 s4, 0
	s_sub_co_ci_u32 s10, s5, s9
	v_sub_co_u32 v2, s8, v1, 10
	s_delay_alu instid0(VALU_DEP_1) | instskip(SKIP_2) | instid1(VALU_DEP_2)
	s_cmp_lg_u32 s8, 0
	v_readfirstlane_b32 s12, v1
	s_sub_co_ci_u32 s8, s10, 0
	v_readfirstlane_b32 s4, v2
	s_delay_alu instid0(VALU_DEP_1)
	s_cmp_gt_u32 s4, 9
	s_add_nc_u64 s[4:5], s[6:7], 1
	s_cselect_b32 s11, -1, 0
	s_wait_alu 0xfffe
	s_cmp_eq_u32 s8, 0
	s_add_nc_u64 s[8:9], s[6:7], 2
	s_cselect_b32 s11, s11, -1
	s_delay_alu instid0(SALU_CYCLE_1)
	s_cmp_lg_u32 s11, 0
	s_wait_alu 0xfffe
	s_cselect_b32 s4, s8, s4
	s_cselect_b32 s5, s9, s5
	s_cmp_gt_u32 s12, 9
	s_cselect_b32 s8, -1, 0
	s_cmp_eq_u32 s10, 0
	s_wait_alu 0xfffe
	s_cselect_b32 s8, s8, -1
	s_wait_alu 0xfffe
	s_cmp_lg_u32 s8, 0
	s_cselect_b32 s5, s5, s7
	s_cselect_b32 s4, s4, s6
	s_wait_alu 0xfffe
	s_add_nc_u64 s[36:37], s[4:5], 1
	s_delay_alu instid0(SALU_CYCLE_1) | instskip(NEXT) | instid1(VALU_DEP_1)
	v_cmp_lt_u64_e64 s4, s[30:31], s[36:37]
	s_and_b32 vcc_lo, exec_lo, s4
	s_cbranch_vccnz .LBB0_2
; %bb.1:
	v_cvt_f32_u32_e32 v1, s36
	s_sub_co_i32 s5, 0, s36
	s_mov_b32 s25, s31
	s_delay_alu instid0(VALU_DEP_1) | instskip(NEXT) | instid1(TRANS32_DEP_1)
	v_rcp_iflag_f32_e32 v1, v1
	v_mul_f32_e32 v1, 0x4f7ffffe, v1
	s_delay_alu instid0(VALU_DEP_1) | instskip(NEXT) | instid1(VALU_DEP_1)
	v_cvt_u32_f32_e32 v1, v1
	v_readfirstlane_b32 s4, v1
	s_wait_alu 0xfffe
	s_delay_alu instid0(VALU_DEP_1)
	s_mul_i32 s5, s5, s4
	s_wait_alu 0xfffe
	s_mul_hi_u32 s5, s4, s5
	s_wait_alu 0xfffe
	s_add_co_i32 s4, s4, s5
	s_wait_alu 0xfffe
	s_mul_hi_u32 s4, s30, s4
	s_wait_alu 0xfffe
	s_mul_i32 s5, s4, s36
	s_add_co_i32 s6, s4, 1
	s_wait_alu 0xfffe
	s_sub_co_i32 s5, s30, s5
	s_wait_alu 0xfffe
	s_sub_co_i32 s7, s5, s36
	s_cmp_ge_u32 s5, s36
	s_cselect_b32 s4, s6, s4
	s_wait_alu 0xfffe
	s_cselect_b32 s5, s7, s5
	s_add_co_i32 s6, s4, 1
	s_wait_alu 0xfffe
	s_cmp_ge_u32 s5, s36
	s_cselect_b32 s24, s6, s4
.LBB0_2:
	s_load_b128 s[8:11], s[0:1], 0x0
	s_load_b128 s[12:15], s[18:19], 0x0
	;; [unrolled: 1-line block ×3, first 2 shown]
	s_load_b64 s[28:29], s[0:1], 0x58
	s_mul_u64 s[20:21], s[24:25], s[36:37]
	s_delay_alu instid0(SALU_CYCLE_1) | instskip(NEXT) | instid1(SALU_CYCLE_1)
	s_sub_nc_u64 s[20:21], s[30:31], s[20:21]
	s_mul_u64 s[20:21], s[20:21], 10
	s_wait_kmcnt 0x0
	v_cmp_lt_u64_e64 s13, s[10:11], 3
	s_mul_u64 s[34:35], s[14:15], s[20:21]
	s_mul_u64 s[22:23], s[6:7], s[20:21]
	s_delay_alu instid0(VALU_DEP_1)
	s_and_b32 vcc_lo, exec_lo, s13
	s_cbranch_vccnz .LBB0_12
; %bb.3:
	s_add_nc_u64 s[38:39], s[26:27], 16
	s_add_nc_u64 s[40:41], s[18:19], 16
	;; [unrolled: 1-line block ×3, first 2 shown]
	s_mov_b64 s[42:43], 2
	s_mov_b32 s44, 0
.LBB0_4:                                ; =>This Inner Loop Header: Depth=1
	s_load_b64 s[46:47], s[16:17], 0x0
                                        ; implicit-def: $sgpr50_sgpr51
	s_wait_kmcnt 0x0
	s_or_b64 s[48:49], s[24:25], s[46:47]
	s_delay_alu instid0(SALU_CYCLE_1)
	s_mov_b32 s45, s49
	s_mov_b32 s49, -1
	s_cmp_lg_u64 s[44:45], 0
	s_cbranch_scc0 .LBB0_6
; %bb.5:                                ;   in Loop: Header=BB0_4 Depth=1
	s_cvt_f32_u32 s13, s46
	s_cvt_f32_u32 s33, s47
	s_sub_nc_u64 s[52:53], 0, s[46:47]
	s_mov_b32 s49, 0
	s_mov_b32 s57, s44
	s_wait_alu 0xfffe
	s_fmamk_f32 s13, s33, 0x4f800000, s13
	s_wait_alu 0xfffe
	s_delay_alu instid0(SALU_CYCLE_2) | instskip(NEXT) | instid1(TRANS32_DEP_1)
	v_s_rcp_f32 s13, s13
	s_mul_f32 s13, s13, 0x5f7ffffc
	s_wait_alu 0xfffe
	s_delay_alu instid0(SALU_CYCLE_2) | instskip(NEXT) | instid1(SALU_CYCLE_3)
	s_mul_f32 s33, s13, 0x2f800000
	s_trunc_f32 s33, s33
	s_delay_alu instid0(SALU_CYCLE_3) | instskip(SKIP_2) | instid1(SALU_CYCLE_1)
	s_fmamk_f32 s13, s33, 0xcf800000, s13
	s_cvt_u32_f32 s51, s33
	s_wait_alu 0xfffe
	s_cvt_u32_f32 s50, s13
	s_wait_alu 0xfffe
	s_delay_alu instid0(SALU_CYCLE_2)
	s_mul_u64 s[54:55], s[52:53], s[50:51]
	s_wait_alu 0xfffe
	s_mul_hi_u32 s59, s50, s55
	s_mul_i32 s58, s50, s55
	s_mul_hi_u32 s48, s50, s54
	s_mul_i32 s33, s51, s54
	s_add_nc_u64 s[58:59], s[48:49], s[58:59]
	s_mul_hi_u32 s13, s51, s54
	s_mul_hi_u32 s45, s51, s55
	s_add_co_u32 s33, s58, s33
	s_wait_alu 0xfffe
	s_add_co_ci_u32 s56, s59, s13
	s_mul_i32 s54, s51, s55
	s_add_co_ci_u32 s55, s45, 0
	s_wait_alu 0xfffe
	s_add_nc_u64 s[54:55], s[56:57], s[54:55]
	s_wait_alu 0xfffe
	v_add_co_u32 v1, s13, s50, s54
	s_delay_alu instid0(VALU_DEP_1) | instskip(SKIP_1) | instid1(VALU_DEP_1)
	s_cmp_lg_u32 s13, 0
	s_add_co_ci_u32 s51, s51, s55
	v_readfirstlane_b32 s50, v1
	s_mov_b32 s55, s44
	s_wait_alu 0xfffe
	s_delay_alu instid0(VALU_DEP_1)
	s_mul_u64 s[52:53], s[52:53], s[50:51]
	s_wait_alu 0xfffe
	s_mul_hi_u32 s57, s50, s53
	s_mul_i32 s56, s50, s53
	s_mul_hi_u32 s48, s50, s52
	s_mul_i32 s33, s51, s52
	s_add_nc_u64 s[56:57], s[48:49], s[56:57]
	s_mul_hi_u32 s13, s51, s52
	s_mul_hi_u32 s45, s51, s53
	s_add_co_u32 s33, s56, s33
	s_wait_alu 0xfffe
	s_add_co_ci_u32 s54, s57, s13
	s_mul_i32 s52, s51, s53
	s_add_co_ci_u32 s53, s45, 0
	s_wait_alu 0xfffe
	s_add_nc_u64 s[52:53], s[54:55], s[52:53]
	s_wait_alu 0xfffe
	v_add_co_u32 v1, s13, v1, s52
	s_delay_alu instid0(VALU_DEP_1) | instskip(SKIP_1) | instid1(VALU_DEP_1)
	s_cmp_lg_u32 s13, 0
	s_add_co_ci_u32 s13, s51, s53
	v_readfirstlane_b32 s33, v1
	s_wait_alu 0xfffe
	s_mul_hi_u32 s51, s24, s13
	s_mul_i32 s50, s24, s13
	s_mul_hi_u32 s45, s25, s13
	s_mul_i32 s52, s25, s13
	;; [unrolled: 2-line block ×3, first 2 shown]
	s_wait_alu 0xfffe
	s_add_nc_u64 s[50:51], s[48:49], s[50:51]
	s_mul_hi_u32 s33, s25, s33
	s_wait_alu 0xfffe
	s_add_co_u32 s13, s50, s13
	s_add_co_ci_u32 s54, s51, s33
	s_add_co_ci_u32 s53, s45, 0
	s_wait_alu 0xfffe
	s_add_nc_u64 s[50:51], s[54:55], s[52:53]
	s_wait_alu 0xfffe
	s_mul_u64 s[52:53], s[46:47], s[50:51]
	s_add_nc_u64 s[54:55], s[50:51], 1
	s_wait_alu 0xfffe
	v_sub_co_u32 v1, s13, s24, s52
	s_sub_co_i32 s33, s25, s53
	s_cmp_lg_u32 s13, 0
	s_add_nc_u64 s[56:57], s[50:51], 2
	s_delay_alu instid0(VALU_DEP_1) | instskip(SKIP_2) | instid1(VALU_DEP_1)
	v_sub_co_u32 v2, s45, v1, s46
	s_sub_co_ci_u32 s33, s33, s47
	s_cmp_lg_u32 s45, 0
	v_readfirstlane_b32 s45, v2
	s_sub_co_ci_u32 s33, s33, 0
	s_delay_alu instid0(SALU_CYCLE_1) | instskip(SKIP_1) | instid1(VALU_DEP_1)
	s_cmp_ge_u32 s33, s47
	s_cselect_b32 s48, -1, 0
	s_cmp_ge_u32 s45, s46
	s_cselect_b32 s45, -1, 0
	s_cmp_eq_u32 s33, s47
	s_cselect_b32 s33, s45, s48
	s_delay_alu instid0(SALU_CYCLE_1)
	s_cmp_lg_u32 s33, 0
	s_cselect_b32 s33, s56, s54
	s_cselect_b32 s45, s57, s55
	s_cmp_lg_u32 s13, 0
	v_readfirstlane_b32 s13, v1
	s_sub_co_ci_u32 s48, s25, s53
	s_delay_alu instid0(SALU_CYCLE_1) | instskip(SKIP_1) | instid1(VALU_DEP_1)
	s_cmp_ge_u32 s48, s47
	s_cselect_b32 s52, -1, 0
	s_cmp_ge_u32 s13, s46
	s_cselect_b32 s13, -1, 0
	s_cmp_eq_u32 s48, s47
	s_wait_alu 0xfffe
	s_cselect_b32 s13, s13, s52
	s_wait_alu 0xfffe
	s_cmp_lg_u32 s13, 0
	s_cselect_b32 s51, s45, s51
	s_cselect_b32 s50, s33, s50
.LBB0_6:                                ;   in Loop: Header=BB0_4 Depth=1
	s_and_not1_b32 vcc_lo, exec_lo, s49
	s_cbranch_vccnz .LBB0_8
; %bb.7:                                ;   in Loop: Header=BB0_4 Depth=1
	v_cvt_f32_u32_e32 v1, s46
	s_sub_co_i32 s33, 0, s46
	s_mov_b32 s51, s44
	s_delay_alu instid0(VALU_DEP_1) | instskip(NEXT) | instid1(TRANS32_DEP_1)
	v_rcp_iflag_f32_e32 v1, v1
	v_mul_f32_e32 v1, 0x4f7ffffe, v1
	s_delay_alu instid0(VALU_DEP_1) | instskip(NEXT) | instid1(VALU_DEP_1)
	v_cvt_u32_f32_e32 v1, v1
	v_readfirstlane_b32 s13, v1
	s_delay_alu instid0(VALU_DEP_1) | instskip(NEXT) | instid1(SALU_CYCLE_1)
	s_mul_i32 s33, s33, s13
	s_mul_hi_u32 s33, s13, s33
	s_delay_alu instid0(SALU_CYCLE_1)
	s_add_co_i32 s13, s13, s33
	s_wait_alu 0xfffe
	s_mul_hi_u32 s13, s24, s13
	s_wait_alu 0xfffe
	s_mul_i32 s33, s13, s46
	s_add_co_i32 s45, s13, 1
	s_sub_co_i32 s33, s24, s33
	s_delay_alu instid0(SALU_CYCLE_1)
	s_sub_co_i32 s48, s33, s46
	s_cmp_ge_u32 s33, s46
	s_cselect_b32 s13, s45, s13
	s_cselect_b32 s33, s48, s33
	s_wait_alu 0xfffe
	s_add_co_i32 s45, s13, 1
	s_cmp_ge_u32 s33, s46
	s_cselect_b32 s50, s45, s13
.LBB0_8:                                ;   in Loop: Header=BB0_4 Depth=1
	s_load_b64 s[48:49], s[40:41], 0x0
	s_load_b64 s[52:53], s[38:39], 0x0
	s_add_nc_u64 s[42:43], s[42:43], 1
	s_mul_u64 s[36:37], s[46:47], s[36:37]
	s_wait_alu 0xfffe
	v_cmp_ge_u64_e64 s13, s[42:43], s[10:11]
	s_mul_u64 s[46:47], s[50:51], s[46:47]
	s_add_nc_u64 s[38:39], s[38:39], 8
	s_wait_alu 0xfffe
	s_sub_nc_u64 s[24:25], s[24:25], s[46:47]
	s_add_nc_u64 s[40:41], s[40:41], 8
	s_add_nc_u64 s[16:17], s[16:17], 8
	s_and_b32 vcc_lo, exec_lo, s13
	s_wait_kmcnt 0x0
	s_wait_alu 0xfffe
	s_mul_u64 s[46:47], s[48:49], s[24:25]
	s_mul_u64 s[24:25], s[52:53], s[24:25]
	s_wait_alu 0xfffe
	s_add_nc_u64 s[34:35], s[46:47], s[34:35]
	s_add_nc_u64 s[22:23], s[24:25], s[22:23]
	s_cbranch_vccnz .LBB0_10
; %bb.9:                                ;   in Loop: Header=BB0_4 Depth=1
	s_mov_b64 s[24:25], s[50:51]
	s_branch .LBB0_4
.LBB0_10:
	v_cmp_lt_u64_e64 s13, s[30:31], s[36:37]
	s_mov_b64 s[24:25], 0
	s_delay_alu instid0(VALU_DEP_1)
	s_and_b32 vcc_lo, exec_lo, s13
	s_cbranch_vccnz .LBB0_12
; %bb.11:
	v_cvt_f32_u32_e32 v1, s36
	s_sub_co_i32 s16, 0, s36
	s_mov_b32 s25, 0
	s_delay_alu instid0(VALU_DEP_1) | instskip(NEXT) | instid1(TRANS32_DEP_1)
	v_rcp_iflag_f32_e32 v1, v1
	v_mul_f32_e32 v1, 0x4f7ffffe, v1
	s_delay_alu instid0(VALU_DEP_1) | instskip(NEXT) | instid1(VALU_DEP_1)
	v_cvt_u32_f32_e32 v1, v1
	v_readfirstlane_b32 s13, v1
	s_delay_alu instid0(VALU_DEP_1) | instskip(NEXT) | instid1(SALU_CYCLE_1)
	s_mul_i32 s16, s16, s13
	s_mul_hi_u32 s16, s13, s16
	s_delay_alu instid0(SALU_CYCLE_1)
	s_add_co_i32 s13, s13, s16
	s_wait_alu 0xfffe
	s_mul_hi_u32 s13, s30, s13
	s_wait_alu 0xfffe
	s_mul_i32 s16, s13, s36
	s_add_co_i32 s17, s13, 1
	s_sub_co_i32 s16, s30, s16
	s_delay_alu instid0(SALU_CYCLE_1)
	s_sub_co_i32 s24, s16, s36
	s_cmp_ge_u32 s16, s36
	s_cselect_b32 s13, s17, s13
	s_wait_alu 0xfffe
	s_cselect_b32 s16, s24, s16
	s_add_co_i32 s17, s13, 1
	s_cmp_ge_u32 s16, s36
	s_cselect_b32 s24, s17, s13
.LBB0_12:
	v_mul_u32_u24_e32 v1, 0x199a, v0
	s_load_b64 s[16:17], s[0:1], 0x60
	v_cmp_gt_u32_e64 s0, 0xfa, v0
	s_lshl_b64 s[10:11], s[10:11], 3
	s_add_nc_u64 s[30:31], s[20:21], 10
	v_lshrrev_b32_e32 v18, 16, v1
	v_cmp_lt_u32_e32 vcc_lo, 0xf9, v0
	v_cndmask_b32_e64 v3, 0, 1, s0
	s_wait_alu 0xfffe
	s_add_nc_u64 s[0:1], s[18:19], s[10:11]
	v_mov_b32_e32 v4, 0
	v_mul_lo_u16 v1, v18, 10
	s_load_b64 s[18:19], s[0:1], 0x0
	s_delay_alu instid0(VALU_DEP_1) | instskip(NEXT) | instid1(VALU_DEP_1)
	v_sub_nc_u16 v1, v0, v1
	v_and_b32_e32 v19, 0xffff, v1
	s_delay_alu instid0(VALU_DEP_1) | instskip(SKIP_3) | instid1(VALU_DEP_2)
	v_add_co_u32 v1, s13, s20, v19
	s_wait_alu 0xf1ff
	v_add_co_ci_u32_e64 v2, null, s21, 0, s13
	v_cmp_le_u64_e64 s13, s[30:31], s[2:3]
	v_cmp_gt_u64_e64 s0, s[2:3], v[1:2]
	v_mov_b32_e32 v2, 0
	v_mad_co_u64_u32 v[9:10], null, s14, v19, 0
	s_delay_alu instid0(VALU_DEP_4) | instskip(SKIP_1) | instid1(VALU_DEP_4)
	s_or_b32 vcc_lo, vcc_lo, s13
	v_cmp_gt_u64_e64 s13, s[30:31], s[2:3]
	v_cndmask_b32_e64 v1, 0, 1, s0
	s_wait_kmcnt 0x0
	s_mul_u64 s[0:1], s[18:19], s[24:25]
	s_delay_alu instid0(VALU_DEP_1) | instskip(NEXT) | instid1(VALU_DEP_4)
	v_cndmask_b32_e32 v3, v1, v3, vcc_lo
	v_mov_b32_e32 v1, v10
	s_delay_alu instid0(VALU_DEP_2) | instskip(NEXT) | instid1(VALU_DEP_2)
	v_and_b32_e32 v3, 1, v3
	v_mad_co_u64_u32 v[5:6], null, s15, v19, v[1:2]
	s_wait_alu 0xfffe
	s_add_nc_u64 s[14:15], s[0:1], s[34:35]
	s_delay_alu instid0(VALU_DEP_2)
	v_cmp_eq_u32_e32 vcc_lo, 1, v3
	v_mov_b32_e32 v3, 0
	s_and_saveexec_b32 s1, vcc_lo
	s_cbranch_execz .LBB0_14
; %bb.13:
	v_mul_lo_u32 v1, s12, v18
	v_mov_b32_e32 v4, 0
	s_wait_alu 0xfffe
	s_delay_alu instid0(VALU_DEP_2) | instskip(NEXT) | instid1(VALU_DEP_1)
	v_add3_u32 v3, s14, v9, v1
	v_lshlrev_b64_e32 v[3:4], 3, v[3:4]
	s_delay_alu instid0(VALU_DEP_1) | instskip(SKIP_1) | instid1(VALU_DEP_2)
	v_add_co_u32 v3, s0, s28, v3
	s_wait_alu 0xf1ff
	v_add_co_ci_u32_e64 v4, s0, s29, v4, s0
	global_load_b64 v[3:4], v[3:4], off
.LBB0_14:
	s_wait_alu 0xfffe
	s_or_b32 exec_lo, exec_lo, s1
	v_mov_b32_e32 v1, 0
	s_and_saveexec_b32 s1, vcc_lo
	s_cbranch_execz .LBB0_16
; %bb.15:
	v_dual_mov_b32 v2, 0 :: v_dual_add_nc_u32 v1, 25, v18
	s_delay_alu instid0(VALU_DEP_1) | instskip(NEXT) | instid1(VALU_DEP_1)
	v_mul_lo_u32 v1, s12, v1
	v_add3_u32 v1, s14, v9, v1
	s_delay_alu instid0(VALU_DEP_1) | instskip(NEXT) | instid1(VALU_DEP_1)
	v_lshlrev_b64_e32 v[1:2], 3, v[1:2]
	v_add_co_u32 v1, s0, s28, v1
	s_wait_alu 0xf1ff
	s_delay_alu instid0(VALU_DEP_2)
	v_add_co_ci_u32_e64 v2, s0, s29, v2, s0
	global_load_b64 v[1:2], v[1:2], off
.LBB0_16:
	s_wait_alu 0xfffe
	s_or_b32 exec_lo, exec_lo, s1
	v_dual_mov_b32 v6, 0 :: v_dual_mov_b32 v7, 0
	v_mov_b32_e32 v8, 0
	s_and_saveexec_b32 s1, vcc_lo
	s_cbranch_execz .LBB0_18
; %bb.17:
	v_dual_mov_b32 v8, 0 :: v_dual_add_nc_u32 v5, 50, v18
	s_delay_alu instid0(VALU_DEP_1) | instskip(NEXT) | instid1(VALU_DEP_1)
	v_mul_lo_u32 v5, s12, v5
	v_add3_u32 v7, s14, v9, v5
	s_delay_alu instid0(VALU_DEP_1) | instskip(NEXT) | instid1(VALU_DEP_1)
	v_lshlrev_b64_e32 v[7:8], 3, v[7:8]
	v_add_co_u32 v7, s0, s28, v7
	s_wait_alu 0xf1ff
	s_delay_alu instid0(VALU_DEP_2)
	v_add_co_ci_u32_e64 v8, s0, s29, v8, s0
	global_load_b64 v[7:8], v[7:8], off
.LBB0_18:
	s_wait_alu 0xfffe
	s_or_b32 exec_lo, exec_lo, s1
	v_mov_b32_e32 v5, 0
	s_and_saveexec_b32 s1, vcc_lo
	s_cbranch_execz .LBB0_20
; %bb.19:
	v_dual_mov_b32 v6, 0 :: v_dual_add_nc_u32 v5, 0x4b, v18
	s_delay_alu instid0(VALU_DEP_1) | instskip(NEXT) | instid1(VALU_DEP_1)
	v_mul_lo_u32 v5, s12, v5
	v_add3_u32 v5, s14, v9, v5
	s_delay_alu instid0(VALU_DEP_1) | instskip(NEXT) | instid1(VALU_DEP_1)
	v_lshlrev_b64_e32 v[5:6], 3, v[5:6]
	v_add_co_u32 v5, s0, s28, v5
	s_wait_alu 0xf1ff
	s_delay_alu instid0(VALU_DEP_2)
	v_add_co_ci_u32_e64 v6, s0, s29, v6, s0
	global_load_b64 v[5:6], v[5:6], off
.LBB0_20:
	s_wait_alu 0xfffe
	s_or_b32 exec_lo, exec_lo, s1
	v_dual_mov_b32 v13, 0 :: v_dual_mov_b32 v10, 0
	v_mov_b32_e32 v11, 0
	s_and_saveexec_b32 s1, vcc_lo
	s_cbranch_execz .LBB0_22
; %bb.21:
	v_dual_mov_b32 v11, 0 :: v_dual_add_nc_u32 v10, 0x64, v18
	s_delay_alu instid0(VALU_DEP_1) | instskip(NEXT) | instid1(VALU_DEP_1)
	v_mul_lo_u32 v10, s12, v10
	v_add3_u32 v10, s14, v9, v10
	s_delay_alu instid0(VALU_DEP_1) | instskip(NEXT) | instid1(VALU_DEP_1)
	v_lshlrev_b64_e32 v[10:11], 3, v[10:11]
	v_add_co_u32 v10, s0, s28, v10
	s_wait_alu 0xf1ff
	s_delay_alu instid0(VALU_DEP_2)
	v_add_co_ci_u32_e64 v11, s0, s29, v11, s0
	global_load_b64 v[10:11], v[10:11], off
.LBB0_22:
	s_wait_alu 0xfffe
	s_or_b32 exec_lo, exec_lo, s1
	v_mov_b32_e32 v12, 0
	s_and_saveexec_b32 s1, vcc_lo
	s_cbranch_execz .LBB0_24
; %bb.23:
	v_dual_mov_b32 v13, 0 :: v_dual_add_nc_u32 v12, 0x7d, v18
	s_delay_alu instid0(VALU_DEP_1) | instskip(NEXT) | instid1(VALU_DEP_1)
	v_mul_lo_u32 v12, s12, v12
	v_add3_u32 v12, s14, v9, v12
	s_delay_alu instid0(VALU_DEP_1) | instskip(NEXT) | instid1(VALU_DEP_1)
	v_lshlrev_b64_e32 v[12:13], 3, v[12:13]
	v_add_co_u32 v12, s0, s28, v12
	s_wait_alu 0xf1ff
	s_delay_alu instid0(VALU_DEP_2)
	v_add_co_ci_u32_e64 v13, s0, s29, v13, s0
	global_load_b64 v[12:13], v[12:13], off
.LBB0_24:
	s_wait_alu 0xfffe
	s_or_b32 exec_lo, exec_lo, s1
	v_dual_mov_b32 v17, 0 :: v_dual_mov_b32 v14, 0
	v_mov_b32_e32 v15, 0
	s_and_saveexec_b32 s1, vcc_lo
	s_cbranch_execz .LBB0_26
; %bb.25:
	v_dual_mov_b32 v15, 0 :: v_dual_add_nc_u32 v14, 0x96, v18
	s_delay_alu instid0(VALU_DEP_1) | instskip(NEXT) | instid1(VALU_DEP_1)
	v_mul_lo_u32 v14, s12, v14
	v_add3_u32 v14, s14, v9, v14
	s_delay_alu instid0(VALU_DEP_1) | instskip(NEXT) | instid1(VALU_DEP_1)
	v_lshlrev_b64_e32 v[14:15], 3, v[14:15]
	v_add_co_u32 v14, s0, s28, v14
	s_wait_alu 0xf1ff
	s_delay_alu instid0(VALU_DEP_2)
	v_add_co_ci_u32_e64 v15, s0, s29, v15, s0
	global_load_b64 v[14:15], v[14:15], off
.LBB0_26:
	s_wait_alu 0xfffe
	s_or_b32 exec_lo, exec_lo, s1
	v_mov_b32_e32 v16, 0
	s_and_saveexec_b32 s0, vcc_lo
	s_cbranch_execz .LBB0_28
; %bb.27:
	v_dual_mov_b32 v17, 0 :: v_dual_add_nc_u32 v16, 0xaf, v18
	s_delay_alu instid0(VALU_DEP_1) | instskip(NEXT) | instid1(VALU_DEP_1)
	v_mul_lo_u32 v16, s12, v16
	v_add3_u32 v16, s14, v9, v16
	s_delay_alu instid0(VALU_DEP_1) | instskip(NEXT) | instid1(VALU_DEP_1)
	v_lshlrev_b64_e32 v[16:17], 3, v[16:17]
	v_add_co_u32 v16, vcc_lo, s28, v16
	s_wait_alu 0xfffd
	s_delay_alu instid0(VALU_DEP_2)
	v_add_co_ci_u32_e32 v17, vcc_lo, s29, v17, vcc_lo
	global_load_b64 v[16:17], v[16:17], off
.LBB0_28:
	s_wait_alu 0xfffe
	s_or_b32 exec_lo, exec_lo, s0
	v_mul_u32_u24_e32 v20, 0x50, v18
	s_add_nc_u64 s[0:1], s[26:27], s[10:11]
	s_mov_b32 s10, exec_lo
	v_cmpx_lt_u32_e32 0xf9, v0
	s_wait_alu 0xfffe
	s_xor_b32 s10, exec_lo, s10
; %bb.29:
	v_mul_u32_u24_e32 v20, 0x50, v18
                                        ; implicit-def: $vgpr4
                                        ; implicit-def: $vgpr2
                                        ; implicit-def: $vgpr8
                                        ; implicit-def: $vgpr6
                                        ; implicit-def: $vgpr11
                                        ; implicit-def: $vgpr13
                                        ; implicit-def: $vgpr15
                                        ; implicit-def: $vgpr17
; %bb.30:
	s_wait_alu 0xfffe
	s_or_saveexec_b32 s10, s10
	s_load_b64 s[0:1], s[0:1], 0x0
	v_lshlrev_b32_e32 v9, 3, v19
	s_xor_b32 exec_lo, exec_lo, s10
	s_cbranch_execz .LBB0_32
; %bb.31:
	s_wait_loadcnt 0x0
	v_dual_sub_f32 v19, v4, v11 :: v_dual_sub_f32 v14, v7, v14
	v_dual_sub_f32 v13, v2, v13 :: v_dual_sub_f32 v16, v5, v16
	;; [unrolled: 1-line block ×3, first 2 shown]
	s_delay_alu instid0(VALU_DEP_3) | instskip(SKIP_2) | instid1(VALU_DEP_4)
	v_dual_sub_f32 v15, v8, v15 :: v_dual_sub_f32 v22, v19, v14
	v_sub_f32_e32 v21, v3, v10
	v_fma_f32 v26, v4, 2.0, -v19
	v_add_f32_e32 v24, v12, v17
	s_delay_alu instid0(VALU_DEP_4)
	v_fma_f32 v4, v8, 2.0, -v15
	v_fma_f32 v1, v1, 2.0, -v12
	;; [unrolled: 1-line block ×3, first 2 shown]
	v_add_f32_e32 v25, v21, v15
	v_sub_f32_e32 v23, v13, v16
	v_sub_f32_e32 v15, v26, v4
	v_fma_f32 v3, v3, 2.0, -v21
	v_sub_f32_e32 v16, v1, v5
	v_fma_f32 v7, v7, 2.0, -v14
	v_fma_f32 v14, v2, 2.0, -v13
	;; [unrolled: 1-line block ×4, first 2 shown]
	v_sub_f32_e32 v8, v15, v16
	v_dual_fmamk_f32 v10, v24, 0x3f3504f3, v25 :: v_dual_fmamk_f32 v11, v23, 0x3f3504f3, v22
	s_delay_alu instid0(VALU_DEP_4) | instskip(SKIP_2) | instid1(VALU_DEP_4)
	v_sub_f32_e32 v6, v14, v6
	v_fma_f32 v19, v13, 2.0, -v23
	v_fma_f32 v21, v21, 2.0, -v25
	v_fmac_f32_e32 v10, 0x3f3504f3, v23
	v_sub_f32_e32 v23, v3, v7
	v_fma_f32 v1, v1, 2.0, -v16
	v_fmamk_f32 v13, v19, 0xbf3504f3, v17
	v_fma_f32 v14, v14, 2.0, -v6
	v_fma_f32 v2, v15, 2.0, -v8
	;; [unrolled: 1-line block ×3, first 2 shown]
	v_fmac_f32_e32 v11, 0xbf3504f3, v24
	s_delay_alu instid0(VALU_DEP_1) | instskip(SKIP_2) | instid1(VALU_DEP_2)
	v_fma_f32 v5, v22, 2.0, -v11
	v_fma_f32 v22, v12, 2.0, -v24
	;; [unrolled: 1-line block ×3, first 2 shown]
	v_fmamk_f32 v12, v22, 0xbf3504f3, v21
	v_fmac_f32_e32 v13, 0xbf3504f3, v22
	s_delay_alu instid0(VALU_DEP_3) | instskip(NEXT) | instid1(VALU_DEP_3)
	v_dual_sub_f32 v15, v24, v14 :: v_dual_sub_f32 v14, v3, v1
	v_dual_fmac_f32 v12, 0x3f3504f3, v19 :: v_dual_lshlrev_b32 v1, 3, v20
	v_add_f32_e32 v7, v23, v6
	s_delay_alu instid0(VALU_DEP_4) | instskip(NEXT) | instid1(VALU_DEP_4)
	v_fma_f32 v17, v17, 2.0, -v13
	v_fma_f32 v22, v24, 2.0, -v15
	;; [unrolled: 1-line block ×5, first 2 shown]
	v_add3_u32 v3, 0, v1, v9
	v_fma_f32 v1, v23, 2.0, -v7
	ds_store_2addr_b64 v3, v[21:22], v[16:17] offset1:10
	ds_store_2addr_b64 v3, v[1:2], v[4:5] offset0:20 offset1:30
	ds_store_2addr_b64 v3, v[14:15], v[12:13] offset0:40 offset1:50
	;; [unrolled: 1-line block ×3, first 2 shown]
.LBB0_32:
	s_or_b32 exec_lo, exec_lo, s10
	v_and_b32_e32 v19, 7, v18
	global_wb scope:SCOPE_SE
	s_wait_loadcnt_dscnt 0x0
	s_wait_kmcnt 0x0
	s_barrier_signal -1
	s_barrier_wait -1
	global_inv scope:SCOPE_SE
	v_lshlrev_b32_e32 v5, 5, v19
	v_mul_lo_u16 v10, v18, 13
	v_add3_u32 v23, 0, v20, v9
	v_lshrrev_b32_e32 v16, 3, v18
	s_and_not1_b32 vcc_lo, exec_lo, s13
	s_clause 0x1
	global_load_b128 v[1:4], v5, s[8:9]
	global_load_b128 v[5:8], v5, s[8:9] offset:16
	v_lshrrev_b16 v21, 9, v10
	ds_load_b64 v[10:11], v23 offset:3200
	ds_load_b64 v[12:13], v23 offset:6400
	;; [unrolled: 1-line block ×3, first 2 shown]
	v_mul_u32_u24_e32 v20, 40, v16
	ds_load_b64 v[16:17], v23 offset:12800
	v_mul_lo_u16 v22, v21, 40
	s_delay_alu instid0(VALU_DEP_1) | instskip(NEXT) | instid1(VALU_DEP_1)
	v_sub_nc_u16 v22, v18, v22
	v_lshlrev_b16 v22, 2, v22
	s_wait_loadcnt_dscnt 0x103
	s_delay_alu instid0(VALU_DEP_1)
	v_dual_mul_f32 v25, v2, v11 :: v_dual_and_b32 v22, 0xfc, v22
	s_wait_dscnt 0x2
	v_mul_f32_e32 v26, v4, v13
	v_or_b32_e32 v24, v20, v19
	ds_load_2addr_b32 v[19:20], v23 offset1:1
	v_mul_f32_e32 v2, v2, v10
	s_wait_loadcnt_dscnt 0x2
	v_dual_mul_f32 v4, v4, v12 :: v_dual_mul_f32 v27, v6, v15
	s_wait_dscnt 0x1
	v_dual_mul_f32 v28, v8, v17 :: v_dual_fmac_f32 v25, v1, v10
	v_mul_f32_e32 v6, v6, v14
	s_delay_alu instid0(VALU_DEP_3)
	v_dual_mul_f32 v8, v8, v16 :: v_dual_fmac_f32 v27, v5, v14
	v_fma_f32 v1, v1, v11, -v2
	v_fma_f32 v2, v3, v13, -v4
	v_fmac_f32_e32 v28, v7, v16
	v_fmac_f32_e32 v26, v3, v12
	v_fma_f32 v8, v7, v17, -v8
	v_mul_u32_u24_e32 v24, 0x50, v24
	global_wb scope:SCOPE_SE
	s_wait_dscnt 0x0
	v_sub_f32_e32 v7, v28, v27
	v_dual_sub_f32 v13, v26, v25 :: v_dual_sub_f32 v10, v1, v8
	v_dual_sub_f32 v32, v2, v1 :: v_dual_add_f32 v3, v25, v19
	v_fma_f32 v4, v5, v15, -v6
	v_dual_add_f32 v5, v26, v27 :: v_dual_sub_f32 v6, v25, v26
	v_dual_add_f32 v12, v25, v28 :: v_dual_add_f32 v15, v20, v1
	s_delay_alu instid0(VALU_DEP_3)
	v_sub_f32_e32 v11, v2, v4
	v_dual_add_f32 v16, v2, v4 :: v_dual_sub_f32 v29, v1, v2
	v_sub_f32_e32 v14, v27, v28
	v_dual_sub_f32 v30, v8, v4 :: v_dual_add_f32 v3, v3, v26
	v_add_f32_e32 v31, v1, v8
	v_sub_f32_e32 v17, v25, v28
	v_sub_f32_e32 v25, v26, v27
	;; [unrolled: 1-line block ×3, first 2 shown]
	v_fma_f32 v1, -0.5, v5, v19
	v_add_f32_e32 v26, v6, v7
	v_add_f32_e32 v6, v15, v2
	v_fma_f32 v2, -0.5, v16, v20
	v_fma_f32 v19, -0.5, v12, v19
	v_add_f32_e32 v12, v13, v14
	v_dual_add_f32 v13, v29, v30 :: v_dual_fmac_f32 v20, -0.5, v31
	v_dual_add_f32 v14, v32, v33 :: v_dual_add_f32 v7, v3, v27
	v_fmamk_f32 v3, v10, 0xbf737871, v1
	v_fmac_f32_e32 v1, 0x3f737871, v10
	s_delay_alu instid0(VALU_DEP_4) | instskip(SKIP_3) | instid1(VALU_DEP_3)
	v_dual_add_f32 v15, v6, v4 :: v_dual_fmamk_f32 v6, v25, 0xbf737871, v20
	v_dual_fmamk_f32 v4, v17, 0x3f737871, v2 :: v_dual_fmamk_f32 v5, v11, 0x3f737871, v19
	v_fmac_f32_e32 v20, 0x3f737871, v25
	v_dual_fmac_f32 v19, 0xbf737871, v11 :: v_dual_fmac_f32 v2, 0xbf737871, v17
	v_dual_add_f32 v7, v7, v28 :: v_dual_fmac_f32 v4, 0x3f167918, v25
	v_dual_fmac_f32 v3, 0xbf167918, v11 :: v_dual_add_f32 v8, v15, v8
	v_dual_fmac_f32 v1, 0x3f167918, v11 :: v_dual_fmac_f32 v6, 0x3f167918, v17
	s_delay_alu instid0(VALU_DEP_4)
	v_dual_fmac_f32 v5, 0xbf167918, v10 :: v_dual_fmac_f32 v2, 0xbf167918, v25
	v_fmac_f32_e32 v19, 0x3f167918, v10
	v_fmac_f32_e32 v20, 0xbf167918, v17
	v_add3_u32 v24, 0, v24, v9
	v_dual_fmac_f32 v3, 0x3e9e377a, v26 :: v_dual_fmac_f32 v4, 0x3e9e377a, v13
	v_dual_fmac_f32 v5, 0x3e9e377a, v12 :: v_dual_lshlrev_b32 v10, 3, v22
	v_dual_fmac_f32 v6, 0x3e9e377a, v14 :: v_dual_fmac_f32 v19, 0x3e9e377a, v12
	v_fmac_f32_e32 v20, 0x3e9e377a, v14
	v_dual_fmac_f32 v1, 0x3e9e377a, v26 :: v_dual_fmac_f32 v2, 0x3e9e377a, v13
	s_barrier_signal -1
	s_barrier_wait -1
	global_inv scope:SCOPE_SE
	ds_store_2addr_b64 v24, v[7:8], v[3:4] offset1:80
	ds_store_2addr_b64 v24, v[5:6], v[19:20] offset0:160 offset1:240
	ds_store_b64 v24, v[1:2] offset:2560
	global_wb scope:SCOPE_SE
	s_wait_dscnt 0x0
	s_barrier_signal -1
	s_barrier_wait -1
	global_inv scope:SCOPE_SE
	s_clause 0x1
	global_load_b128 v[4:7], v10, s[8:9] offset:256
	global_load_b128 v[10:13], v10, s[8:9] offset:272
	ds_load_2addr_b32 v[14:15], v23 offset1:1
	ds_load_b64 v[16:17], v23 offset:3200
	ds_load_b64 v[19:20], v23 offset:6400
	v_and_b32_e32 v3, 0xffff, v21
	ds_load_b64 v[21:22], v23 offset:9600
	v_and_b32_e32 v1, 0xffff, v0
	ds_load_b64 v[23:24], v23 offset:12800
	s_mul_u64 s[8:9], s[0:1], s[24:25]
	s_mov_b32 s0, -1
	s_wait_alu 0xfffe
	s_add_nc_u64 s[8:9], s[8:9], s[22:23]
	global_wb scope:SCOPE_SE
	s_wait_loadcnt_dscnt 0x0
	s_barrier_signal -1
	s_barrier_wait -1
	global_inv scope:SCOPE_SE
	v_mul_f32_e32 v8, v11, v22
	v_mul_u32_u24_e32 v1, 0x148, v1
	s_delay_alu instid0(VALU_DEP_2) | instskip(NEXT) | instid1(VALU_DEP_2)
	v_fmac_f32_e32 v8, v10, v21
	v_lshrrev_b32_e32 v2, 16, v1
	v_mad_u32_u24 v1, 0xa0, v3, v18
	s_delay_alu instid0(VALU_DEP_2) | instskip(NEXT) | instid1(VALU_DEP_2)
	v_mul_lo_u16 v3, 0xc8, v2
	v_mul_u32_u24_e32 v1, 0x50, v1
	s_delay_alu instid0(VALU_DEP_2) | instskip(NEXT) | instid1(VALU_DEP_2)
	v_sub_nc_u16 v0, v0, v3
	v_add3_u32 v18, 0, v1, v9
	v_mul_f32_e32 v1, v5, v16
	s_delay_alu instid0(VALU_DEP_3) | instskip(SKIP_1) | instid1(VALU_DEP_3)
	v_dual_mul_f32 v0, v5, v17 :: v_dual_and_b32 v3, 0xffff, v0
	v_mul_f32_e32 v5, v7, v20
	v_fma_f32 v1, v4, v17, -v1
	s_delay_alu instid0(VALU_DEP_3) | instskip(NEXT) | instid1(VALU_DEP_3)
	v_dual_fmac_f32 v0, v4, v16 :: v_dual_mul_f32 v7, v7, v19
	v_fmac_f32_e32 v5, v6, v19
	s_delay_alu instid0(VALU_DEP_2) | instskip(SKIP_3) | instid1(VALU_DEP_4)
	v_fma_f32 v4, v6, v20, -v7
	v_mul_f32_e32 v9, v11, v21
	v_mul_f32_e32 v11, v13, v24
	v_dual_mul_f32 v13, v13, v23 :: v_dual_add_f32 v6, v0, v14
	v_sub_f32_e32 v26, v1, v4
	s_delay_alu instid0(VALU_DEP_4) | instskip(SKIP_1) | instid1(VALU_DEP_4)
	v_fma_f32 v7, v10, v22, -v9
	v_add_f32_e32 v22, v15, v1
	v_fma_f32 v13, v12, v24, -v13
	s_delay_alu instid0(VALU_DEP_1)
	v_sub_f32_e32 v10, v1, v13
	v_sub_f32_e32 v16, v0, v5
	v_dual_fmac_f32 v11, v12, v23 :: v_dual_sub_f32 v20, v5, v0
	v_add_f32_e32 v9, v5, v8
	v_add_f32_e32 v28, v1, v13
	v_sub_f32_e32 v30, v7, v13
	s_delay_alu instid0(VALU_DEP_4)
	v_dual_sub_f32 v24, v0, v11 :: v_dual_sub_f32 v17, v11, v8
	v_add_f32_e32 v19, v0, v11
	v_sub_f32_e32 v25, v5, v8
	v_fma_f32 v0, -0.5, v9, v14
	v_add_f32_e32 v5, v6, v5
	v_sub_f32_e32 v21, v8, v11
	v_sub_f32_e32 v29, v4, v1
	v_sub_f32_e32 v12, v4, v7
	v_add_f32_e32 v16, v16, v17
	v_dual_add_f32 v8, v5, v8 :: v_dual_add_f32 v23, v4, v7
	v_fma_f32 v14, -0.5, v19, v14
	v_dual_add_f32 v17, v20, v21 :: v_dual_add_f32 v20, v29, v30
	v_add_f32_e32 v9, v22, v4
	s_delay_alu instid0(VALU_DEP_4) | instskip(NEXT) | instid1(VALU_DEP_4)
	v_fma_f32 v1, -0.5, v23, v15
	v_dual_fmamk_f32 v6, v12, 0x3f737871, v14 :: v_dual_fmac_f32 v15, -0.5, v28
	v_add_f32_e32 v8, v8, v11
	v_dual_sub_f32 v27, v13, v7 :: v_dual_fmamk_f32 v4, v10, 0xbf737871, v0
	v_fmac_f32_e32 v14, 0xbf737871, v12
	v_dual_fmamk_f32 v5, v24, 0x3f737871, v1 :: v_dual_fmac_f32 v0, 0x3f737871, v10
	v_add_f32_e32 v9, v9, v7
	v_fmamk_f32 v7, v25, 0xbf737871, v15
	v_fmac_f32_e32 v15, 0x3f737871, v25
	v_fmac_f32_e32 v1, 0xbf737871, v24
	v_dual_fmac_f32 v0, 0x3f167918, v12 :: v_dual_add_f32 v19, v26, v27
	v_fmac_f32_e32 v4, 0xbf167918, v12
	v_dual_fmac_f32 v14, 0x3f167918, v10 :: v_dual_fmac_f32 v5, 0x3f167918, v25
	v_dual_fmac_f32 v6, 0xbf167918, v10 :: v_dual_add_f32 v9, v9, v13
	v_fmac_f32_e32 v7, 0x3f167918, v24
	v_fmac_f32_e32 v15, 0xbf167918, v24
	;; [unrolled: 1-line block ×3, first 2 shown]
	v_dual_fmac_f32 v4, 0x3e9e377a, v16 :: v_dual_fmac_f32 v5, 0x3e9e377a, v19
	s_delay_alu instid0(VALU_DEP_4) | instskip(NEXT) | instid1(VALU_DEP_4)
	v_dual_fmac_f32 v6, 0x3e9e377a, v17 :: v_dual_fmac_f32 v7, 0x3e9e377a, v20
	v_dual_fmac_f32 v14, 0x3e9e377a, v17 :: v_dual_fmac_f32 v15, 0x3e9e377a, v20
	s_delay_alu instid0(VALU_DEP_4)
	v_dual_fmac_f32 v0, 0x3e9e377a, v16 :: v_dual_fmac_f32 v1, 0x3e9e377a, v19
	ds_store_b64 v18, v[8:9]
	ds_store_b64 v18, v[4:5] offset:3200
	ds_store_b64 v18, v[6:7] offset:6400
	;; [unrolled: 1-line block ×4, first 2 shown]
	global_wb scope:SCOPE_SE
	s_wait_dscnt 0x0
	s_barrier_signal -1
	s_barrier_wait -1
	global_inv scope:SCOPE_SE
	s_cbranch_vccz .LBB0_35
; %bb.33:
	s_and_not1_b32 vcc_lo, exec_lo, s0
	s_wait_alu 0xfffe
	s_cbranch_vccz .LBB0_39
.LBB0_34:
	s_nop 0
	s_sendmsg sendmsg(MSG_DEALLOC_VGPRS)
	s_endpgm
.LBB0_35:
	v_add_co_u32 v0, s0, s20, v2
	s_wait_alu 0xf1ff
	v_add_co_ci_u32_e64 v1, null, s21, 0, s0
	s_mov_b32 s1, exec_lo
	s_delay_alu instid0(VALU_DEP_1)
	v_cmpx_gt_u64_e64 s[2:3], v[0:1]
	s_cbranch_execz .LBB0_38
; %bb.36:
	v_mad_co_u64_u32 v[4:5], null, s4, v3, 0
	s_wait_alu 0xfffe
	s_lshl_b64 s[10:11], s[8:9], 3
	v_lshlrev_b32_e32 v7, 3, v2
	s_wait_alu 0xfffe
	s_add_nc_u64 s[10:11], s[16:17], s[10:11]
	s_delay_alu instid0(VALU_DEP_2) | instskip(SKIP_1) | instid1(VALU_DEP_1)
	v_mad_co_u64_u32 v[5:6], null, s5, v3, v[5:6]
	v_mul_u32_u24_e32 v6, 0x50, v3
	v_add3_u32 v6, v6, v7, 0
	s_delay_alu instid0(VALU_DEP_3) | instskip(SKIP_1) | instid1(VALU_DEP_1)
	v_lshlrev_b64_e32 v[4:5], 3, v[4:5]
	s_wait_alu 0xfffe
	v_add_co_u32 v4, vcc_lo, s10, v4
	s_wait_alu 0xfffd
	s_delay_alu instid0(VALU_DEP_2)
	v_add_co_ci_u32_e32 v5, vcc_lo, s11, v5, vcc_lo
	s_mov_b32 s10, 0
	s_mov_b32 s11, 0
.LBB0_37:                               ; =>This Inner Loop Header: Depth=1
	s_wait_alu 0xfffe
	v_add_nc_u32_e32 v9, s11, v2
	s_add_co_i32 s11, s11, 2
	s_wait_alu 0xfffe
	v_add_co_u32 v11, vcc_lo, v0, s11
	s_delay_alu instid0(VALU_DEP_2) | instskip(SKIP_2) | instid1(VALU_DEP_1)
	v_mad_co_u64_u32 v[7:8], null, s6, v9, 0
	s_wait_alu 0xfffd
	v_add_co_ci_u32_e32 v12, vcc_lo, 0, v1, vcc_lo
	v_cmp_le_u64_e32 vcc_lo, s[2:3], v[11:12]
	s_delay_alu instid0(VALU_DEP_3) | instskip(SKIP_4) | instid1(VALU_DEP_1)
	v_mad_co_u64_u32 v[8:9], null, s7, v9, v[8:9]
	ds_load_b64 v[9:10], v6
	v_add_nc_u32_e32 v6, 16, v6
	s_or_b32 s10, vcc_lo, s10
	v_lshlrev_b64_e32 v[7:8], 3, v[7:8]
	v_add_co_u32 v7, s0, v4, v7
	s_wait_alu 0xf1ff
	s_delay_alu instid0(VALU_DEP_2)
	v_add_co_ci_u32_e64 v8, s0, v5, v8, s0
	s_wait_dscnt 0x0
	global_store_b64 v[7:8], v[9:10], off
	s_wait_alu 0xfffe
	s_and_not1_b32 exec_lo, exec_lo, s10
	s_cbranch_execnz .LBB0_37
.LBB0_38:
	s_wait_alu 0xfffe
	s_or_b32 exec_lo, exec_lo, s1
	s_cbranch_execnz .LBB0_34
.LBB0_39:
	v_mad_co_u64_u32 v[0:1], null, s4, v3, 0
	v_mad_co_u64_u32 v[4:5], null, s6, v2, 0
	v_mul_u32_u24_e32 v10, 0x50, v3
	v_lshlrev_b32_e32 v11, 3, v2
	v_or_b32_e32 v15, 4, v2
	s_lshl_b64 s[0:1], s[8:9], 3
	v_mad_co_u64_u32 v[6:7], null, s5, v3, v[1:2]
	v_add_nc_u32_e32 v14, 2, v2
	v_add3_u32 v21, 0, v10, v11
	v_mad_co_u64_u32 v[10:11], null, s6, v15, 0
	s_wait_alu 0xfffe
	s_add_nc_u64 s[0:1], s[16:17], s[0:1]
	v_or_b32_e32 v20, 8, v2
	v_mov_b32_e32 v1, v6
	v_mad_co_u64_u32 v[7:8], null, s7, v2, v[5:6]
	v_mad_co_u64_u32 v[8:9], null, s6, v14, 0
	v_add_nc_u32_e32 v18, 6, v2
	s_delay_alu instid0(VALU_DEP_4) | instskip(NEXT) | instid1(VALU_DEP_4)
	v_lshlrev_b64_e32 v[0:1], 3, v[0:1]
	v_mov_b32_e32 v5, v7
	s_delay_alu instid0(VALU_DEP_3) | instskip(SKIP_2) | instid1(VALU_DEP_4)
	v_mad_co_u64_u32 v[12:13], null, s6, v18, 0
	v_mov_b32_e32 v3, v9
	s_wait_alu 0xfffe
	v_add_co_u32 v22, vcc_lo, s0, v0
	v_mov_b32_e32 v0, v11
	v_lshlrev_b64_e32 v[4:5], 3, v[4:5]
	s_wait_alu 0xfffd
	v_add_co_ci_u32_e32 v23, vcc_lo, s1, v1, vcc_lo
	s_delay_alu instid0(VALU_DEP_3) | instskip(NEXT) | instid1(VALU_DEP_3)
	v_mad_co_u64_u32 v[0:1], null, s7, v15, v[0:1]
	v_mad_co_u64_u32 v[6:7], null, s7, v14, v[3:4]
	;; [unrolled: 1-line block ×3, first 2 shown]
	v_mov_b32_e32 v1, v13
	v_add_co_u32 v16, vcc_lo, v22, v4
	v_mov_b32_e32 v11, v0
	v_mov_b32_e32 v9, v6
	s_delay_alu instid0(VALU_DEP_4)
	v_mad_co_u64_u32 v[18:19], null, s7, v18, v[1:2]
	v_mov_b32_e32 v13, v15
	ds_load_2addr_b64 v[0:3], v21 offset1:2
	s_wait_alu 0xfffd
	v_add_co_ci_u32_e32 v17, vcc_lo, v23, v5, vcc_lo
	ds_load_2addr_b64 v[4:7], v21 offset0:4 offset1:6
	v_mad_co_u64_u32 v[19:20], null, s7, v20, v[13:14]
	v_lshlrev_b64_e32 v[8:9], 3, v[8:9]
	v_mov_b32_e32 v13, v18
	ds_load_b64 v[20:21], v21 offset:64
	v_lshlrev_b64_e32 v[10:11], 3, v[10:11]
	v_mov_b32_e32 v15, v19
	v_add_co_u32 v8, vcc_lo, v22, v8
	v_lshlrev_b64_e32 v[12:13], 3, v[12:13]
	s_wait_alu 0xfffd
	v_add_co_ci_u32_e32 v9, vcc_lo, v23, v9, vcc_lo
	v_add_co_u32 v10, vcc_lo, v22, v10
	v_lshlrev_b64_e32 v[14:15], 3, v[14:15]
	s_wait_alu 0xfffd
	v_add_co_ci_u32_e32 v11, vcc_lo, v23, v11, vcc_lo
	v_add_co_u32 v12, vcc_lo, v22, v12
	s_wait_alu 0xfffd
	v_add_co_ci_u32_e32 v13, vcc_lo, v23, v13, vcc_lo
	v_add_co_u32 v14, vcc_lo, v22, v14
	s_wait_alu 0xfffd
	v_add_co_ci_u32_e32 v15, vcc_lo, v23, v15, vcc_lo
	s_wait_dscnt 0x2
	s_clause 0x1
	global_store_b64 v[16:17], v[0:1], off
	global_store_b64 v[8:9], v[2:3], off
	s_wait_dscnt 0x1
	s_clause 0x1
	global_store_b64 v[10:11], v[4:5], off
	global_store_b64 v[12:13], v[6:7], off
	s_wait_dscnt 0x0
	global_store_b64 v[14:15], v[20:21], off
	s_nop 0
	s_sendmsg sendmsg(MSG_DEALLOC_VGPRS)
	s_endpgm
	.section	.rodata,"a",@progbits
	.p2align	6, 0x0
	.amdhsa_kernel fft_rtc_back_len200_factors_8_5_5_wgs_400_tpt_40_sp_op_CI_CI_sbcr_dirReg_intrinsicReadWrite
		.amdhsa_group_segment_fixed_size 0
		.amdhsa_private_segment_fixed_size 0
		.amdhsa_kernarg_size 104
		.amdhsa_user_sgpr_count 2
		.amdhsa_user_sgpr_dispatch_ptr 0
		.amdhsa_user_sgpr_queue_ptr 0
		.amdhsa_user_sgpr_kernarg_segment_ptr 1
		.amdhsa_user_sgpr_dispatch_id 0
		.amdhsa_user_sgpr_private_segment_size 0
		.amdhsa_wavefront_size32 1
		.amdhsa_uses_dynamic_stack 0
		.amdhsa_enable_private_segment 0
		.amdhsa_system_sgpr_workgroup_id_x 1
		.amdhsa_system_sgpr_workgroup_id_y 0
		.amdhsa_system_sgpr_workgroup_id_z 0
		.amdhsa_system_sgpr_workgroup_info 0
		.amdhsa_system_vgpr_workitem_id 0
		.amdhsa_next_free_vgpr 34
		.amdhsa_next_free_sgpr 60
		.amdhsa_reserve_vcc 1
		.amdhsa_float_round_mode_32 0
		.amdhsa_float_round_mode_16_64 0
		.amdhsa_float_denorm_mode_32 3
		.amdhsa_float_denorm_mode_16_64 3
		.amdhsa_fp16_overflow 0
		.amdhsa_workgroup_processor_mode 1
		.amdhsa_memory_ordered 1
		.amdhsa_forward_progress 0
		.amdhsa_round_robin_scheduling 0
		.amdhsa_exception_fp_ieee_invalid_op 0
		.amdhsa_exception_fp_denorm_src 0
		.amdhsa_exception_fp_ieee_div_zero 0
		.amdhsa_exception_fp_ieee_overflow 0
		.amdhsa_exception_fp_ieee_underflow 0
		.amdhsa_exception_fp_ieee_inexact 0
		.amdhsa_exception_int_div_zero 0
	.end_amdhsa_kernel
	.text
.Lfunc_end0:
	.size	fft_rtc_back_len200_factors_8_5_5_wgs_400_tpt_40_sp_op_CI_CI_sbcr_dirReg_intrinsicReadWrite, .Lfunc_end0-fft_rtc_back_len200_factors_8_5_5_wgs_400_tpt_40_sp_op_CI_CI_sbcr_dirReg_intrinsicReadWrite
                                        ; -- End function
	.section	.AMDGPU.csdata,"",@progbits
; Kernel info:
; codeLenInByte = 5260
; NumSgprs: 62
; NumVgprs: 34
; ScratchSize: 0
; MemoryBound: 0
; FloatMode: 240
; IeeeMode: 1
; LDSByteSize: 0 bytes/workgroup (compile time only)
; SGPRBlocks: 7
; VGPRBlocks: 4
; NumSGPRsForWavesPerEU: 62
; NumVGPRsForWavesPerEU: 34
; Occupancy: 13
; WaveLimiterHint : 1
; COMPUTE_PGM_RSRC2:SCRATCH_EN: 0
; COMPUTE_PGM_RSRC2:USER_SGPR: 2
; COMPUTE_PGM_RSRC2:TRAP_HANDLER: 0
; COMPUTE_PGM_RSRC2:TGID_X_EN: 1
; COMPUTE_PGM_RSRC2:TGID_Y_EN: 0
; COMPUTE_PGM_RSRC2:TGID_Z_EN: 0
; COMPUTE_PGM_RSRC2:TIDIG_COMP_CNT: 0
	.text
	.p2alignl 7, 3214868480
	.fill 96, 4, 3214868480
	.type	__hip_cuid_9d30c2f56989a136,@object ; @__hip_cuid_9d30c2f56989a136
	.section	.bss,"aw",@nobits
	.globl	__hip_cuid_9d30c2f56989a136
__hip_cuid_9d30c2f56989a136:
	.byte	0                               ; 0x0
	.size	__hip_cuid_9d30c2f56989a136, 1

	.ident	"AMD clang version 19.0.0git (https://github.com/RadeonOpenCompute/llvm-project roc-6.4.0 25133 c7fe45cf4b819c5991fe208aaa96edf142730f1d)"
	.section	".note.GNU-stack","",@progbits
	.addrsig
	.addrsig_sym __hip_cuid_9d30c2f56989a136
	.amdgpu_metadata
---
amdhsa.kernels:
  - .args:
      - .actual_access:  read_only
        .address_space:  global
        .offset:         0
        .size:           8
        .value_kind:     global_buffer
      - .offset:         8
        .size:           8
        .value_kind:     by_value
      - .actual_access:  read_only
        .address_space:  global
        .offset:         16
        .size:           8
        .value_kind:     global_buffer
      - .actual_access:  read_only
        .address_space:  global
        .offset:         24
        .size:           8
        .value_kind:     global_buffer
      - .actual_access:  read_only
        .address_space:  global
        .offset:         32
        .size:           8
        .value_kind:     global_buffer
      - .offset:         40
        .size:           8
        .value_kind:     by_value
      - .actual_access:  read_only
        .address_space:  global
        .offset:         48
        .size:           8
        .value_kind:     global_buffer
      - .actual_access:  read_only
        .address_space:  global
        .offset:         56
        .size:           8
        .value_kind:     global_buffer
      - .offset:         64
        .size:           4
        .value_kind:     by_value
      - .actual_access:  read_only
        .address_space:  global
        .offset:         72
        .size:           8
        .value_kind:     global_buffer
      - .actual_access:  read_only
        .address_space:  global
        .offset:         80
        .size:           8
        .value_kind:     global_buffer
      - .actual_access:  read_only
        .address_space:  global
        .offset:         88
        .size:           8
        .value_kind:     global_buffer
      - .actual_access:  write_only
        .address_space:  global
        .offset:         96
        .size:           8
        .value_kind:     global_buffer
    .group_segment_fixed_size: 0
    .kernarg_segment_align: 8
    .kernarg_segment_size: 104
    .language:       OpenCL C
    .language_version:
      - 2
      - 0
    .max_flat_workgroup_size: 400
    .name:           fft_rtc_back_len200_factors_8_5_5_wgs_400_tpt_40_sp_op_CI_CI_sbcr_dirReg_intrinsicReadWrite
    .private_segment_fixed_size: 0
    .sgpr_count:     62
    .sgpr_spill_count: 0
    .symbol:         fft_rtc_back_len200_factors_8_5_5_wgs_400_tpt_40_sp_op_CI_CI_sbcr_dirReg_intrinsicReadWrite.kd
    .uniform_work_group_size: 1
    .uses_dynamic_stack: false
    .vgpr_count:     34
    .vgpr_spill_count: 0
    .wavefront_size: 32
    .workgroup_processor_mode: 1
amdhsa.target:   amdgcn-amd-amdhsa--gfx1201
amdhsa.version:
  - 1
  - 2
...

	.end_amdgpu_metadata
